;; amdgpu-corpus repo=ROCm/rocFFT kind=compiled arch=gfx1030 opt=O3
	.text
	.amdgcn_target "amdgcn-amd-amdhsa--gfx1030"
	.amdhsa_code_object_version 6
	.protected	fft_rtc_back_len300_factors_10_10_3_wgs_60_tpt_30_halfLds_dp_op_CI_CI_unitstride_sbrr_C2R_dirReg ; -- Begin function fft_rtc_back_len300_factors_10_10_3_wgs_60_tpt_30_halfLds_dp_op_CI_CI_unitstride_sbrr_C2R_dirReg
	.globl	fft_rtc_back_len300_factors_10_10_3_wgs_60_tpt_30_halfLds_dp_op_CI_CI_unitstride_sbrr_C2R_dirReg
	.p2align	8
	.type	fft_rtc_back_len300_factors_10_10_3_wgs_60_tpt_30_halfLds_dp_op_CI_CI_unitstride_sbrr_C2R_dirReg,@function
fft_rtc_back_len300_factors_10_10_3_wgs_60_tpt_30_halfLds_dp_op_CI_CI_unitstride_sbrr_C2R_dirReg: ; @fft_rtc_back_len300_factors_10_10_3_wgs_60_tpt_30_halfLds_dp_op_CI_CI_unitstride_sbrr_C2R_dirReg
; %bb.0:
	s_clause 0x2
	s_load_dwordx4 s[12:15], s[4:5], 0x0
	s_load_dwordx4 s[8:11], s[4:5], 0x58
	;; [unrolled: 1-line block ×3, first 2 shown]
	v_mul_u32_u24_e32 v1, 0x889, v0
	v_mov_b32_e32 v3, 0
	v_lshrrev_b32_e32 v7, 16, v1
	v_mov_b32_e32 v1, 0
	v_mov_b32_e32 v6, v3
	v_mov_b32_e32 v2, 0
	v_lshl_add_u32 v5, s6, 1, v7
	s_waitcnt lgkmcnt(0)
	v_cmp_lt_u64_e64 s0, s[14:15], 2
	s_and_b32 vcc_lo, exec_lo, s0
	s_cbranch_vccnz .LBB0_8
; %bb.1:
	s_load_dwordx2 s[0:1], s[4:5], 0x10
	v_mov_b32_e32 v1, 0
	v_mov_b32_e32 v2, 0
	s_add_u32 s2, s18, 8
	s_addc_u32 s3, s19, 0
	s_add_u32 s6, s16, 8
	s_addc_u32 s7, s17, 0
	v_mov_b32_e32 v49, v2
	v_mov_b32_e32 v48, v1
	s_mov_b64 s[22:23], 1
	s_waitcnt lgkmcnt(0)
	s_add_u32 s20, s0, 8
	s_addc_u32 s21, s1, 0
.LBB0_2:                                ; =>This Inner Loop Header: Depth=1
	s_load_dwordx2 s[24:25], s[20:21], 0x0
                                        ; implicit-def: $vgpr50_vgpr51
	s_mov_b32 s0, exec_lo
	s_waitcnt lgkmcnt(0)
	v_or_b32_e32 v4, s25, v6
	v_cmpx_ne_u64_e32 0, v[3:4]
	s_xor_b32 s1, exec_lo, s0
	s_cbranch_execz .LBB0_4
; %bb.3:                                ;   in Loop: Header=BB0_2 Depth=1
	v_cvt_f32_u32_e32 v4, s24
	v_cvt_f32_u32_e32 v8, s25
	s_sub_u32 s0, 0, s24
	s_subb_u32 s26, 0, s25
	v_fmac_f32_e32 v4, 0x4f800000, v8
	v_rcp_f32_e32 v4, v4
	v_mul_f32_e32 v4, 0x5f7ffffc, v4
	v_mul_f32_e32 v8, 0x2f800000, v4
	v_trunc_f32_e32 v8, v8
	v_fmac_f32_e32 v4, 0xcf800000, v8
	v_cvt_u32_f32_e32 v8, v8
	v_cvt_u32_f32_e32 v4, v4
	v_mul_lo_u32 v9, s0, v8
	v_mul_hi_u32 v10, s0, v4
	v_mul_lo_u32 v11, s26, v4
	v_add_nc_u32_e32 v9, v10, v9
	v_mul_lo_u32 v10, s0, v4
	v_add_nc_u32_e32 v9, v9, v11
	v_mul_hi_u32 v11, v4, v10
	v_mul_lo_u32 v12, v4, v9
	v_mul_hi_u32 v13, v4, v9
	v_mul_hi_u32 v14, v8, v10
	v_mul_lo_u32 v10, v8, v10
	v_mul_hi_u32 v15, v8, v9
	v_mul_lo_u32 v9, v8, v9
	v_add_co_u32 v11, vcc_lo, v11, v12
	v_add_co_ci_u32_e32 v12, vcc_lo, 0, v13, vcc_lo
	v_add_co_u32 v10, vcc_lo, v11, v10
	v_add_co_ci_u32_e32 v10, vcc_lo, v12, v14, vcc_lo
	v_add_co_ci_u32_e32 v11, vcc_lo, 0, v15, vcc_lo
	v_add_co_u32 v9, vcc_lo, v10, v9
	v_add_co_ci_u32_e32 v10, vcc_lo, 0, v11, vcc_lo
	v_add_co_u32 v4, vcc_lo, v4, v9
	v_add_co_ci_u32_e32 v8, vcc_lo, v8, v10, vcc_lo
	v_mul_hi_u32 v9, s0, v4
	v_mul_lo_u32 v11, s26, v4
	v_mul_lo_u32 v10, s0, v8
	v_add_nc_u32_e32 v9, v9, v10
	v_mul_lo_u32 v10, s0, v4
	v_add_nc_u32_e32 v9, v9, v11
	v_mul_hi_u32 v11, v4, v10
	v_mul_lo_u32 v12, v4, v9
	v_mul_hi_u32 v13, v4, v9
	v_mul_hi_u32 v14, v8, v10
	v_mul_lo_u32 v10, v8, v10
	v_mul_hi_u32 v15, v8, v9
	v_mul_lo_u32 v9, v8, v9
	v_add_co_u32 v11, vcc_lo, v11, v12
	v_add_co_ci_u32_e32 v12, vcc_lo, 0, v13, vcc_lo
	v_add_co_u32 v10, vcc_lo, v11, v10
	v_add_co_ci_u32_e32 v10, vcc_lo, v12, v14, vcc_lo
	v_add_co_ci_u32_e32 v11, vcc_lo, 0, v15, vcc_lo
	v_add_co_u32 v9, vcc_lo, v10, v9
	v_add_co_ci_u32_e32 v10, vcc_lo, 0, v11, vcc_lo
	v_add_co_u32 v4, vcc_lo, v4, v9
	v_add_co_ci_u32_e32 v12, vcc_lo, v8, v10, vcc_lo
	v_mul_hi_u32 v14, v5, v4
	v_mad_u64_u32 v[10:11], null, v6, v4, 0
	v_mad_u64_u32 v[8:9], null, v5, v12, 0
	v_mad_u64_u32 v[12:13], null, v6, v12, 0
	v_add_co_u32 v4, vcc_lo, v14, v8
	v_add_co_ci_u32_e32 v8, vcc_lo, 0, v9, vcc_lo
	v_add_co_u32 v4, vcc_lo, v4, v10
	v_add_co_ci_u32_e32 v4, vcc_lo, v8, v11, vcc_lo
	v_add_co_ci_u32_e32 v8, vcc_lo, 0, v13, vcc_lo
	v_add_co_u32 v4, vcc_lo, v4, v12
	v_add_co_ci_u32_e32 v10, vcc_lo, 0, v8, vcc_lo
	v_mul_lo_u32 v11, s25, v4
	v_mad_u64_u32 v[8:9], null, s24, v4, 0
	v_mul_lo_u32 v12, s24, v10
	v_sub_co_u32 v8, vcc_lo, v5, v8
	v_add3_u32 v9, v9, v12, v11
	v_sub_nc_u32_e32 v11, v6, v9
	v_subrev_co_ci_u32_e64 v11, s0, s25, v11, vcc_lo
	v_add_co_u32 v12, s0, v4, 2
	v_add_co_ci_u32_e64 v13, s0, 0, v10, s0
	v_sub_co_u32 v14, s0, v8, s24
	v_sub_co_ci_u32_e32 v9, vcc_lo, v6, v9, vcc_lo
	v_subrev_co_ci_u32_e64 v11, s0, 0, v11, s0
	v_cmp_le_u32_e32 vcc_lo, s24, v14
	v_cmp_eq_u32_e64 s0, s25, v9
	v_cndmask_b32_e64 v14, 0, -1, vcc_lo
	v_cmp_le_u32_e32 vcc_lo, s25, v11
	v_cndmask_b32_e64 v15, 0, -1, vcc_lo
	v_cmp_le_u32_e32 vcc_lo, s24, v8
	;; [unrolled: 2-line block ×3, first 2 shown]
	v_cndmask_b32_e64 v16, 0, -1, vcc_lo
	v_cmp_eq_u32_e32 vcc_lo, s25, v11
	v_cndmask_b32_e64 v8, v16, v8, s0
	v_cndmask_b32_e32 v11, v15, v14, vcc_lo
	v_add_co_u32 v14, vcc_lo, v4, 1
	v_add_co_ci_u32_e32 v15, vcc_lo, 0, v10, vcc_lo
	v_cmp_ne_u32_e32 vcc_lo, 0, v11
	v_cndmask_b32_e32 v9, v15, v13, vcc_lo
	v_cndmask_b32_e32 v11, v14, v12, vcc_lo
	v_cmp_ne_u32_e32 vcc_lo, 0, v8
	v_cndmask_b32_e32 v51, v10, v9, vcc_lo
	v_cndmask_b32_e32 v50, v4, v11, vcc_lo
.LBB0_4:                                ;   in Loop: Header=BB0_2 Depth=1
	s_andn2_saveexec_b32 s0, s1
	s_cbranch_execz .LBB0_6
; %bb.5:                                ;   in Loop: Header=BB0_2 Depth=1
	v_cvt_f32_u32_e32 v4, s24
	s_sub_i32 s1, 0, s24
	v_mov_b32_e32 v51, v3
	v_rcp_iflag_f32_e32 v4, v4
	v_mul_f32_e32 v4, 0x4f7ffffe, v4
	v_cvt_u32_f32_e32 v4, v4
	v_mul_lo_u32 v8, s1, v4
	v_mul_hi_u32 v8, v4, v8
	v_add_nc_u32_e32 v4, v4, v8
	v_mul_hi_u32 v4, v5, v4
	v_mul_lo_u32 v8, v4, s24
	v_add_nc_u32_e32 v9, 1, v4
	v_sub_nc_u32_e32 v8, v5, v8
	v_subrev_nc_u32_e32 v10, s24, v8
	v_cmp_le_u32_e32 vcc_lo, s24, v8
	v_cndmask_b32_e32 v8, v8, v10, vcc_lo
	v_cndmask_b32_e32 v4, v4, v9, vcc_lo
	v_cmp_le_u32_e32 vcc_lo, s24, v8
	v_add_nc_u32_e32 v9, 1, v4
	v_cndmask_b32_e32 v50, v4, v9, vcc_lo
.LBB0_6:                                ;   in Loop: Header=BB0_2 Depth=1
	s_or_b32 exec_lo, exec_lo, s0
	v_mul_lo_u32 v4, v51, s24
	v_mul_lo_u32 v10, v50, s25
	s_load_dwordx2 s[0:1], s[6:7], 0x0
	v_mad_u64_u32 v[8:9], null, v50, s24, 0
	s_load_dwordx2 s[24:25], s[2:3], 0x0
	s_add_u32 s22, s22, 1
	s_addc_u32 s23, s23, 0
	s_add_u32 s2, s2, 8
	s_addc_u32 s3, s3, 0
	s_add_u32 s6, s6, 8
	v_add3_u32 v4, v9, v10, v4
	v_sub_co_u32 v5, vcc_lo, v5, v8
	s_addc_u32 s7, s7, 0
	s_add_u32 s20, s20, 8
	v_sub_co_ci_u32_e32 v4, vcc_lo, v6, v4, vcc_lo
	s_addc_u32 s21, s21, 0
	s_waitcnt lgkmcnt(0)
	v_mul_lo_u32 v6, s0, v4
	v_mul_lo_u32 v8, s1, v5
	v_mad_u64_u32 v[1:2], null, s0, v5, v[1:2]
	v_mul_lo_u32 v4, s24, v4
	v_mul_lo_u32 v9, s25, v5
	v_mad_u64_u32 v[48:49], null, s24, v5, v[48:49]
	v_cmp_ge_u64_e64 s0, s[22:23], s[14:15]
	v_add3_u32 v2, v8, v2, v6
	v_add3_u32 v49, v9, v49, v4
	s_and_b32 vcc_lo, exec_lo, s0
	s_cbranch_vccnz .LBB0_9
; %bb.7:                                ;   in Loop: Header=BB0_2 Depth=1
	v_mov_b32_e32 v5, v50
	v_mov_b32_e32 v6, v51
	s_branch .LBB0_2
.LBB0_8:
	v_mov_b32_e32 v49, v2
	v_mov_b32_e32 v51, v6
	;; [unrolled: 1-line block ×4, first 2 shown]
.LBB0_9:
	s_load_dwordx2 s[0:1], s[4:5], 0x28
	v_and_b32_e32 v3, 1, v7
	v_mul_hi_u32 v4, 0x8888889, v0
	s_lshl_b64 s[4:5], s[14:15], 3
                                        ; implicit-def: $vgpr52
	s_add_u32 s2, s18, s4
	s_addc_u32 s3, s19, s5
	s_waitcnt lgkmcnt(0)
	v_cmp_gt_u64_e32 vcc_lo, s[0:1], v[50:51]
	v_cmp_le_u64_e64 s1, s[0:1], v[50:51]
	v_cmp_eq_u32_e64 s0, 1, v3
	s_and_saveexec_b32 s6, s1
	s_xor_b32 s1, exec_lo, s6
; %bb.10:
	v_mul_u32_u24_e32 v1, 30, v4
                                        ; implicit-def: $vgpr4
	v_sub_nc_u32_e32 v52, v0, v1
                                        ; implicit-def: $vgpr0
                                        ; implicit-def: $vgpr1_vgpr2
; %bb.11:
	s_or_saveexec_b32 s1, s1
	s_load_dwordx2 s[2:3], s[2:3], 0x0
	v_cndmask_b32_e64 v3, 0, 0x12d, s0
	v_lshlrev_b32_e32 v56, 4, v3
	s_xor_b32 exec_lo, exec_lo, s1
	s_cbranch_execz .LBB0_15
; %bb.12:
	s_add_u32 s4, s16, s4
	s_addc_u32 s5, s17, s5
	v_lshlrev_b64 v[1:2], 4, v[1:2]
	s_load_dwordx2 s[4:5], s[4:5], 0x0
	s_waitcnt lgkmcnt(0)
	v_mul_lo_u32 v7, s5, v50
	v_mul_lo_u32 v8, s4, v51
	v_mad_u64_u32 v[5:6], null, s4, v50, 0
	s_mov_b32 s4, exec_lo
	v_add3_u32 v6, v6, v8, v7
	v_mul_u32_u24_e32 v7, 30, v4
	v_lshlrev_b64 v[4:5], 4, v[5:6]
	v_sub_nc_u32_e32 v52, v0, v7
	v_lshlrev_b32_e32 v44, 4, v52
	v_add_co_u32 v0, s0, s8, v4
	v_add_co_ci_u32_e64 v4, s0, s9, v5, s0
	v_add_co_u32 v0, s0, v0, v1
	v_add_co_ci_u32_e64 v1, s0, v4, v2, s0
	v_add3_u32 v2, 0, v56, v44
	v_add_co_u32 v20, s0, v0, v44
	v_add_co_ci_u32_e64 v21, s0, 0, v1, s0
	s_clause 0x3
	global_load_dwordx4 v[4:7], v[20:21], off
	global_load_dwordx4 v[8:11], v[20:21], off offset:480
	global_load_dwordx4 v[12:15], v[20:21], off offset:960
	;; [unrolled: 1-line block ×3, first 2 shown]
	v_add_co_u32 v36, s0, 0x800, v20
	v_add_co_ci_u32_e64 v37, s0, 0, v21, s0
	v_add_co_u32 v40, s0, 0x1000, v20
	v_add_co_ci_u32_e64 v41, s0, 0, v21, s0
	s_clause 0x5
	global_load_dwordx4 v[20:23], v[20:21], off offset:1920
	global_load_dwordx4 v[24:27], v[36:37], off offset:352
	;; [unrolled: 1-line block ×6, first 2 shown]
	s_waitcnt vmcnt(9)
	ds_write_b128 v2, v[4:7]
	s_waitcnt vmcnt(8)
	ds_write_b128 v2, v[8:11] offset:480
	s_waitcnt vmcnt(7)
	ds_write_b128 v2, v[12:15] offset:960
	;; [unrolled: 2-line block ×9, first 2 shown]
	v_cmpx_eq_u32_e32 29, v52
	s_cbranch_execz .LBB0_14
; %bb.13:
	v_add_co_u32 v0, s0, 0x1000, v0
	v_add_co_ci_u32_e64 v1, s0, 0, v1, s0
	v_mov_b32_e32 v52, 29
	global_load_dwordx4 v[4:7], v[0:1], off offset:704
	s_waitcnt vmcnt(0)
	ds_write_b128 v2, v[4:7] offset:4336
.LBB0_14:
	s_or_b32 exec_lo, exec_lo, s4
.LBB0_15:
	s_or_b32 exec_lo, exec_lo, s1
	v_lshl_add_u32 v55, v3, 4, 0
	v_lshlrev_b32_e32 v0, 4, v52
	s_waitcnt lgkmcnt(0)
	s_barrier
	buffer_gl0_inv
	s_add_u32 s1, s12, 0x1220
	v_add_nc_u32_e32 v16, v55, v0
	v_sub_nc_u32_e32 v10, v55, v0
	s_addc_u32 s4, s13, 0
	s_mov_b32 s5, exec_lo
	ds_read_b64 v[6:7], v16
	ds_read_b64 v[8:9], v10 offset:4800
                                        ; implicit-def: $vgpr4_vgpr5
	s_waitcnt lgkmcnt(0)
	v_add_f64 v[0:1], v[6:7], v[8:9]
	v_add_f64 v[2:3], v[6:7], -v[8:9]
	v_cmpx_ne_u32_e32 0, v52
	s_xor_b32 s5, exec_lo, s5
	s_cbranch_execz .LBB0_17
; %bb.16:
	v_mov_b32_e32 v53, 0
	v_add_f64 v[13:14], v[6:7], v[8:9]
	v_add_f64 v[17:18], v[6:7], -v[8:9]
	v_lshlrev_b64 v[0:1], 4, v[52:53]
	v_add_co_u32 v0, s0, s1, v0
	v_add_co_ci_u32_e64 v1, s0, s4, v1, s0
	global_load_dwordx4 v[2:5], v[0:1], off
	ds_read_b64 v[0:1], v10 offset:4808
	ds_read_b64 v[11:12], v16 offset:8
	s_waitcnt lgkmcnt(0)
	v_add_f64 v[6:7], v[0:1], v[11:12]
	v_add_f64 v[0:1], v[11:12], -v[0:1]
	s_waitcnt vmcnt(0)
	v_fma_f64 v[8:9], v[17:18], v[4:5], v[13:14]
	v_fma_f64 v[11:12], -v[17:18], v[4:5], v[13:14]
	v_fma_f64 v[13:14], v[6:7], v[4:5], -v[0:1]
	v_fma_f64 v[4:5], v[6:7], v[4:5], v[0:1]
	v_fma_f64 v[0:1], -v[6:7], v[2:3], v[8:9]
	v_fma_f64 v[6:7], v[6:7], v[2:3], v[11:12]
	v_fma_f64 v[8:9], v[17:18], v[2:3], v[13:14]
	;; [unrolled: 1-line block ×3, first 2 shown]
	v_mov_b32_e32 v4, v52
	v_mov_b32_e32 v5, v53
	ds_write_b128 v10, v[6:9] offset:4800
.LBB0_17:
	s_andn2_saveexec_b32 s0, s5
	s_cbranch_execz .LBB0_19
; %bb.18:
	ds_read_b128 v[4:7], v55 offset:2400
	s_waitcnt lgkmcnt(0)
	v_add_f64 v[11:12], v[4:5], v[4:5]
	v_mul_f64 v[13:14], v[6:7], -2.0
	v_mov_b32_e32 v4, 0
	v_mov_b32_e32 v5, 0
	ds_write_b128 v55, v[11:14] offset:2400
.LBB0_19:
	s_or_b32 exec_lo, exec_lo, s0
	v_lshlrev_b64 v[4:5], 4, v[4:5]
	s_mov_b32 s8, 0x134454ff
	s_mov_b32 s9, 0xbfee6f0e
	;; [unrolled: 1-line block ×5, first 2 shown]
	v_add_co_u32 v8, s0, s1, v4
	v_add_co_ci_u32_e64 v9, s0, s4, v5, s0
	s_mov_b32 s1, 0x3fee6f0e
	s_mov_b32 s0, s8
	;; [unrolled: 1-line block ×3, first 2 shown]
	s_clause 0x2
	global_load_dwordx4 v[4:7], v[8:9], off offset:480
	global_load_dwordx4 v[11:14], v[8:9], off offset:960
	;; [unrolled: 1-line block ×3, first 2 shown]
	ds_write_b128 v16, v[0:3]
	ds_read_b128 v[0:3], v16 offset:480
	ds_read_b128 v[21:24], v10 offset:4320
	global_load_dwordx4 v[25:28], v[8:9], off offset:1920
	s_mov_b32 s14, 0x372fe950
	s_mov_b32 s15, 0x3fd3c6ef
	;; [unrolled: 1-line block ×8, first 2 shown]
	v_and_b32_e32 v96, 0xff, v52
	s_waitcnt lgkmcnt(0)
	v_add_f64 v[8:9], v[0:1], v[21:22]
	v_add_f64 v[29:30], v[23:24], v[2:3]
	v_add_f64 v[21:22], v[0:1], -v[21:22]
	v_add_f64 v[0:1], v[2:3], -v[23:24]
	s_waitcnt vmcnt(3)
	v_fma_f64 v[2:3], v[21:22], v[6:7], v[8:9]
	v_fma_f64 v[23:24], v[29:30], v[6:7], v[0:1]
	v_fma_f64 v[8:9], -v[21:22], v[6:7], v[8:9]
	v_fma_f64 v[31:32], v[29:30], v[6:7], -v[0:1]
	v_fma_f64 v[0:1], -v[29:30], v[4:5], v[2:3]
	v_fma_f64 v[2:3], v[21:22], v[4:5], v[23:24]
	v_fma_f64 v[6:7], v[29:30], v[4:5], v[8:9]
	;; [unrolled: 1-line block ×3, first 2 shown]
	ds_write_b128 v16, v[0:3] offset:480
	ds_write_b128 v10, v[6:9] offset:4320
	ds_read_b128 v[0:3], v16 offset:960
	ds_read_b128 v[4:7], v10 offset:3840
	s_waitcnt lgkmcnt(0)
	v_add_f64 v[8:9], v[0:1], v[4:5]
	v_add_f64 v[21:22], v[6:7], v[2:3]
	v_add_f64 v[23:24], v[0:1], -v[4:5]
	v_add_f64 v[0:1], v[2:3], -v[6:7]
	s_waitcnt vmcnt(2)
	v_fma_f64 v[2:3], v[23:24], v[13:14], v[8:9]
	v_fma_f64 v[4:5], v[21:22], v[13:14], v[0:1]
	v_fma_f64 v[6:7], -v[23:24], v[13:14], v[8:9]
	v_fma_f64 v[8:9], v[21:22], v[13:14], -v[0:1]
	v_fma_f64 v[0:1], -v[21:22], v[11:12], v[2:3]
	v_fma_f64 v[2:3], v[23:24], v[11:12], v[4:5]
	v_fma_f64 v[4:5], v[21:22], v[11:12], v[6:7]
	;; [unrolled: 1-line block ×3, first 2 shown]
	ds_write_b128 v16, v[0:3] offset:960
	ds_write_b128 v10, v[4:7] offset:3840
	ds_read_b128 v[0:3], v16 offset:1440
	ds_read_b128 v[4:7], v10 offset:3360
	s_waitcnt lgkmcnt(0)
	v_add_f64 v[8:9], v[0:1], v[4:5]
	v_add_f64 v[11:12], v[6:7], v[2:3]
	v_add_f64 v[13:14], v[0:1], -v[4:5]
	v_add_f64 v[0:1], v[2:3], -v[6:7]
	s_waitcnt vmcnt(1)
	v_fma_f64 v[2:3], v[13:14], v[19:20], v[8:9]
	v_fma_f64 v[4:5], v[11:12], v[19:20], v[0:1]
	v_fma_f64 v[6:7], -v[13:14], v[19:20], v[8:9]
	v_fma_f64 v[8:9], v[11:12], v[19:20], -v[0:1]
	v_fma_f64 v[0:1], -v[11:12], v[17:18], v[2:3]
	v_fma_f64 v[2:3], v[13:14], v[17:18], v[4:5]
	v_fma_f64 v[4:5], v[11:12], v[17:18], v[6:7]
	;; [unrolled: 1-line block ×3, first 2 shown]
	v_lshl_add_u32 v17, v52, 4, 0
	ds_write_b128 v16, v[0:3] offset:1440
	ds_write_b128 v10, v[4:7] offset:3360
	ds_read_b128 v[0:3], v16 offset:1920
	ds_read_b128 v[4:7], v10 offset:2880
	v_add_nc_u32_e32 v57, v17, v56
	s_waitcnt lgkmcnt(0)
	v_add_f64 v[8:9], v[0:1], v[4:5]
	v_add_f64 v[11:12], v[6:7], v[2:3]
	v_add_f64 v[13:14], v[0:1], -v[4:5]
	v_add_f64 v[0:1], v[2:3], -v[6:7]
	s_waitcnt vmcnt(0)
	v_fma_f64 v[2:3], v[13:14], v[27:28], v[8:9]
	v_fma_f64 v[4:5], v[11:12], v[27:28], v[0:1]
	v_fma_f64 v[6:7], -v[13:14], v[27:28], v[8:9]
	v_fma_f64 v[8:9], v[11:12], v[27:28], -v[0:1]
	v_fma_f64 v[0:1], -v[11:12], v[25:26], v[2:3]
	v_fma_f64 v[2:3], v[13:14], v[25:26], v[4:5]
	v_fma_f64 v[4:5], v[11:12], v[25:26], v[6:7]
	;; [unrolled: 1-line block ×3, first 2 shown]
	ds_write_b128 v16, v[0:3] offset:1920
	ds_write_b128 v10, v[4:7] offset:2880
	s_waitcnt lgkmcnt(0)
	s_barrier
	buffer_gl0_inv
	s_barrier
	buffer_gl0_inv
	ds_read_b128 v[18:21], v57 offset:1440
	ds_read_b128 v[0:3], v57 offset:4320
	;; [unrolled: 1-line block ×8, first 2 shown]
	ds_read_b128 v[34:37], v16
	ds_read_b128 v[38:41], v57 offset:480
	s_waitcnt lgkmcnt(0)
	s_barrier
	buffer_gl0_inv
	v_add_f64 v[42:43], v[20:21], v[2:3]
	v_add_f64 v[62:63], v[18:19], v[0:1]
	;; [unrolled: 1-line block ×8, first 2 shown]
	v_add_f64 v[68:69], v[22:23], -v[8:9]
	v_add_f64 v[72:73], v[38:39], v[18:19]
	v_add_f64 v[74:75], v[40:41], v[20:21]
	v_add_f64 v[76:77], v[20:21], -v[2:3]
	v_add_f64 v[78:79], v[18:19], -v[0:1]
	v_add_f64 v[66:67], v[34:35], v[30:31]
	v_add_f64 v[70:71], v[36:37], v[32:33]
	v_add_f64 v[84:85], v[24:25], -v[10:11]
	v_add_f64 v[86:87], v[18:19], -v[22:23]
	;; [unrolled: 1-line block ×7, first 2 shown]
	v_fma_f64 v[42:43], v[42:43], -0.5, v[40:41]
	v_add_f64 v[80:81], v[30:31], -v[26:27]
	v_fma_f64 v[40:41], v[44:45], -0.5, v[40:41]
	v_fma_f64 v[44:45], v[46:47], -0.5, v[38:39]
	;; [unrolled: 1-line block ×3, first 2 shown]
	v_add_f64 v[62:63], v[10:11], -v[2:3]
	v_fma_f64 v[53:54], v[53:54], -0.5, v[34:35]
	v_fma_f64 v[34:35], v[58:59], -0.5, v[34:35]
	v_fma_f64 v[60:61], v[60:61], -0.5, v[36:37]
	v_fma_f64 v[36:37], v[64:65], -0.5, v[36:37]
	v_add_f64 v[22:23], v[72:73], v[22:23]
	v_add_f64 v[46:47], v[32:33], -v[6:7]
	v_add_f64 v[82:83], v[26:27], -v[30:31]
	;; [unrolled: 1-line block ×4, first 2 shown]
	v_add_f64 v[66:67], v[66:67], v[26:27]
	v_add_f64 v[26:27], v[26:27], -v[12:13]
	v_add_f64 v[24:25], v[74:75], v[24:25]
	v_add_f64 v[74:75], v[32:33], -v[28:29]
	;; [unrolled: 2-line block ×3, first 2 shown]
	v_add_f64 v[88:89], v[88:89], v[92:93]
	v_fma_f64 v[58:59], v[68:69], s[8:9], v[42:43]
	v_fma_f64 v[42:43], v[68:69], s[0:1], v[42:43]
	;; [unrolled: 1-line block ×5, first 2 shown]
	v_add_f64 v[92:93], v[8:9], -v[0:1]
	v_add_f64 v[20:21], v[20:21], v[62:63]
	v_add_f64 v[62:63], v[28:29], -v[14:15]
	v_fma_f64 v[44:45], v[76:77], s[0:1], v[44:45]
	v_add_f64 v[32:33], v[28:29], -v[32:33]
	v_add_f64 v[28:29], v[70:71], v[28:29]
	v_add_f64 v[22:23], v[22:23], v[8:9]
	;; [unrolled: 1-line block ×3, first 2 shown]
	v_add_f64 v[80:81], v[6:7], -v[14:15]
	v_add_f64 v[12:13], v[66:67], v[12:13]
	v_add_f64 v[9:10], v[24:25], v[10:11]
	v_mul_lo_u16 v94, 0xcd, v96
	v_add_f64 v[82:83], v[82:83], v[90:91]
	v_fma_f64 v[90:91], v[46:47], s[8:9], v[53:54]
	v_fma_f64 v[58:59], v[78:79], s[4:5], v[58:59]
	;; [unrolled: 1-line block ×8, first 2 shown]
	v_add_f64 v[68:69], v[14:15], -v[6:7]
	v_add_f64 v[18:19], v[18:19], v[92:93]
	v_fma_f64 v[53:54], v[46:47], s[0:1], v[53:54]
	v_fma_f64 v[92:93], v[62:63], s[0:1], v[34:35]
	;; [unrolled: 1-line block ×4, first 2 shown]
	v_add_f64 v[14:15], v[28:29], v[14:15]
	v_lshrrev_b16 v8, 11, v94
	v_add_f64 v[74:75], v[74:75], v[80:81]
	v_add_f64 v[11:12], v[12:13], v[4:5]
	v_fma_f64 v[24:25], v[62:63], s[6:7], v[90:91]
	v_fma_f64 v[58:59], v[20:21], s[14:15], v[58:59]
	;; [unrolled: 1-line block ×12, first 2 shown]
	v_add_f64 v[32:33], v[32:33], v[68:69]
	v_fma_f64 v[28:29], v[62:63], s[4:5], v[53:54]
	v_fma_f64 v[53:54], v[46:47], s[6:7], v[92:93]
	;; [unrolled: 1-line block ×3, first 2 shown]
	v_add_f64 v[5:6], v[14:15], v[6:7]
	v_add_f64 v[13:14], v[22:23], v[0:1]
	;; [unrolled: 1-line block ×3, first 2 shown]
	v_mul_lo_u16 v0, v8, 10
	v_mov_b32_e32 v7, 9
	v_mov_b32_e32 v15, 4
	v_fma_f64 v[24:25], v[70:71], s[14:15], v[24:25]
	v_mul_f64 v[66:67], v[58:59], s[8:9]
	v_mul_f64 v[58:59], v[58:59], s[14:15]
	v_sub_nc_u16 v4, v52, v0
	v_fma_f64 v[46:47], v[26:27], s[4:5], v[76:77]
	v_mul_f64 v[62:63], v[64:65], s[6:7]
	v_mul_f64 v[68:69], v[72:73], s[4:5]
	v_fma_f64 v[26:27], v[26:27], s[6:7], v[60:61]
	v_fma_f64 v[60:61], v[18:19], s[14:15], v[78:79]
	;; [unrolled: 1-line block ×4, first 2 shown]
	v_mul_f64 v[38:39], v[20:21], s[8:9]
	v_fma_f64 v[30:31], v[30:31], s[6:7], v[36:37]
	v_mul_f64 v[20:21], v[20:21], s[20:21]
	v_fma_f64 v[36:37], v[86:87], s[14:15], v[44:45]
	v_mul_f64 v[44:45], v[40:41], s[6:7]
	v_mul_f64 v[40:41], v[40:41], s[18:19]
	v_fma_f64 v[70:71], v[70:71], s[14:15], v[28:29]
	v_fma_f64 v[53:54], v[82:83], s[14:15], v[53:54]
	v_add_f64 v[0:1], v[11:12], v[13:14]
	v_add_f64 v[2:3], v[5:6], v[22:23]
	v_add_f64 v[9:10], v[11:12], -v[13:14]
	v_add_f64 v[11:12], v[5:6], -v[22:23]
	v_mul_u32_u24_sdwa v5, v4, v7 dst_sel:DWORD dst_unused:UNUSED_PAD src0_sel:BYTE_0 src1_sel:DWORD
	v_lshlrev_b32_sdwa v4, v15, v4 dst_sel:DWORD dst_unused:UNUSED_PAD src0_sel:DWORD src1_sel:BYTE_0
	v_fma_f64 v[28:29], v[74:75], s[14:15], v[46:47]
	v_fma_f64 v[46:47], v[72:73], s[16:17], v[62:63]
	;; [unrolled: 1-line block ×13, first 2 shown]
	v_mad_u32_u24 v58, 0x90, v52, v17
	v_lshlrev_b32_e32 v5, 4, v5
	v_add_nc_u32_e32 v6, v58, v56
	v_add_f64 v[18:19], v[24:25], v[46:47]
	v_add_f64 v[20:21], v[28:29], v[64:65]
	v_add_f64 v[26:27], v[24:25], -v[46:47]
	v_add_f64 v[22:23], v[53:54], v[62:63]
	v_add_f64 v[28:29], v[28:29], -v[64:65]
	v_add_f64 v[34:35], v[53:54], -v[62:63]
	v_add_f64 v[30:31], v[66:67], v[68:69]
	v_add_f64 v[24:25], v[42:43], v[38:39]
	v_add_f64 v[36:37], v[42:43], -v[38:39]
	v_add_f64 v[32:33], v[74:75], v[76:77]
	v_add_f64 v[38:39], v[70:71], v[44:45]
	;; [unrolled: 1-line block ×3, first 2 shown]
	v_add_f64 v[42:43], v[66:67], -v[68:69]
	v_add_f64 v[59:60], v[70:71], -v[44:45]
	;; [unrolled: 1-line block ×4, first 2 shown]
	ds_write_b128 v6, v[0:3]
	ds_write_b128 v6, v[9:12] offset:80
	ds_write_b128 v6, v[18:21] offset:16
	;; [unrolled: 1-line block ×9, first 2 shown]
	s_waitcnt lgkmcnt(0)
	s_barrier
	buffer_gl0_inv
	s_clause 0x8
	global_load_dwordx4 v[0:3], v5, s[12:13] offset:16
	global_load_dwordx4 v[9:12], v5, s[12:13] offset:48
	;; [unrolled: 1-line block ×8, first 2 shown]
	global_load_dwordx4 v[41:44], v5, s[12:13]
	ds_read_b128 v[59:62], v57 offset:960
	ds_read_b128 v[63:66], v57 offset:1920
	;; [unrolled: 1-line block ×7, first 2 shown]
	v_and_b32_e32 v47, 0xffff, v8
	s_waitcnt vmcnt(8) lgkmcnt(6)
	v_mul_f64 v[5:6], v[61:62], v[2:3]
	s_waitcnt vmcnt(7) lgkmcnt(5)
	v_mul_f64 v[45:46], v[65:66], v[11:12]
	v_mul_f64 v[53:54], v[63:64], v[11:12]
	ds_read_b128 v[11:14], v57 offset:3360
	v_mul_f64 v[2:3], v[59:60], v[2:3]
	s_waitcnt vmcnt(6) lgkmcnt(5)
	v_mul_f64 v[87:88], v[69:70], v[19:20]
	v_mul_f64 v[19:20], v[67:68], v[19:20]
	s_waitcnt vmcnt(4) lgkmcnt(3)
	v_mul_f64 v[91:92], v[77:78], v[27:28]
	v_mul_f64 v[27:28], v[75:76], v[27:28]
	v_mul_f64 v[89:90], v[71:72], v[23:24]
	s_waitcnt vmcnt(3) lgkmcnt(1)
	v_mul_f64 v[95:96], v[83:84], v[31:32]
	v_mul_f64 v[31:32], v[85:86], v[31:32]
	v_fma_f64 v[5:6], v[59:60], v[0:1], v[5:6]
	v_fma_f64 v[45:46], v[63:64], v[9:10], v[45:46]
	v_fma_f64 v[9:10], v[65:66], v[9:10], -v[53:54]
	s_waitcnt vmcnt(2)
	v_mul_f64 v[53:54], v[79:80], v[35:36]
	s_waitcnt vmcnt(1) lgkmcnt(0)
	v_mul_f64 v[63:64], v[11:12], v[39:40]
	v_fma_f64 v[93:94], v[61:62], v[0:1], -v[2:3]
	ds_read_b128 v[0:3], v57 offset:480
	ds_read_b128 v[59:62], v16
	v_fma_f64 v[65:66], v[67:68], v[17:18], v[87:88]
	v_fma_f64 v[17:18], v[69:70], v[17:18], -v[19:20]
	v_mul_f64 v[19:20], v[73:74], v[23:24]
	v_mul_f64 v[23:24], v[81:82], v[35:36]
	;; [unrolled: 1-line block ×3, first 2 shown]
	v_fma_f64 v[39:40], v[75:76], v[25:26], v[91:92]
	v_fma_f64 v[25:26], v[77:78], v[25:26], -v[27:28]
	v_fma_f64 v[67:68], v[73:74], v[21:22], -v[89:90]
	;; [unrolled: 1-line block ×3, first 2 shown]
	s_waitcnt vmcnt(0) lgkmcnt(0)
	s_barrier
	buffer_gl0_inv
	v_fma_f64 v[53:54], v[81:82], v[33:34], -v[53:54]
	v_mul_f64 v[27:28], v[0:1], v[43:44]
	v_fma_f64 v[13:14], v[13:14], v[37:38], -v[63:64]
	v_mul_f64 v[43:44], v[2:3], v[43:44]
	v_add_f64 v[77:78], v[93:94], -v[9:10]
	v_add_f64 v[75:76], v[61:62], v[93:94]
	v_fma_f64 v[19:20], v[71:72], v[21:22], v[19:20]
	v_fma_f64 v[21:22], v[79:80], v[33:34], v[23:24]
	;; [unrolled: 1-line block ×4, first 2 shown]
	v_add_f64 v[31:32], v[45:46], v[65:66]
	v_add_f64 v[33:34], v[5:6], v[39:40]
	;; [unrolled: 1-line block ×4, first 2 shown]
	v_add_f64 v[63:64], v[39:40], -v[65:66]
	v_add_f64 v[71:72], v[45:46], -v[5:6]
	v_add_f64 v[73:74], v[65:66], -v[39:40]
	v_add_f64 v[79:80], v[25:26], -v[17:18]
	v_fma_f64 v[2:3], v[2:3], v[41:42], -v[27:28]
	v_add_f64 v[29:30], v[53:54], v[13:14]
	v_add_f64 v[27:28], v[67:68], v[69:70]
	v_fma_f64 v[0:1], v[0:1], v[41:42], v[43:44]
	v_add_f64 v[43:44], v[5:6], -v[45:46]
	v_add_f64 v[41:42], v[59:60], v[5:6]
	v_add_f64 v[5:6], v[5:6], -v[39:40]
	v_add_f64 v[81:82], v[19:20], -v[21:22]
	v_add_f64 v[87:88], v[21:22], v[11:12]
	v_add_f64 v[83:84], v[23:24], -v[11:12]
	v_add_f64 v[91:92], v[19:20], v[23:24]
	v_add_f64 v[95:96], v[19:20], -v[23:24]
	v_add_f64 v[89:90], v[21:22], -v[11:12]
	;; [unrolled: 1-line block ×4, first 2 shown]
	v_fma_f64 v[31:32], v[31:32], -0.5, v[59:60]
	v_fma_f64 v[33:34], v[33:34], -0.5, v[59:60]
	;; [unrolled: 1-line block ×4, first 2 shown]
	v_add_f64 v[59:60], v[67:68], -v[53:54]
	v_add_f64 v[61:62], v[69:70], -v[13:14]
	v_add_f64 v[71:72], v[71:72], v[73:74]
	v_add_f64 v[73:74], v[13:14], -v[69:70]
	v_fma_f64 v[29:30], v[29:30], -0.5, v[2:3]
	v_fma_f64 v[27:28], v[27:28], -0.5, v[2:3]
	v_add_f64 v[19:20], v[0:1], v[19:20]
	v_add_f64 v[43:44], v[43:44], v[63:64]
	v_add_f64 v[63:64], v[53:54], -v[67:68]
	v_add_f64 v[2:3], v[2:3], v[67:68]
	v_add_f64 v[67:68], v[67:68], -v[69:70]
	v_add_f64 v[77:78], v[77:78], v[79:80]
	v_add_f64 v[81:82], v[81:82], v[83:84]
	v_fma_f64 v[83:84], v[87:88], -0.5, v[0:1]
	v_fma_f64 v[0:1], v[91:92], -0.5, v[0:1]
	v_add_f64 v[79:80], v[53:54], -v[13:14]
	v_add_f64 v[41:42], v[41:42], v[45:46]
	v_add_f64 v[85:86], v[85:86], v[97:98]
	v_add_f64 v[97:98], v[93:94], -v[25:26]
	v_add_f64 v[45:46], v[45:46], -v[65:66]
	;; [unrolled: 1-line block ×3, first 2 shown]
	v_add_f64 v[59:60], v[59:60], v[61:62]
	v_add_f64 v[61:62], v[9:10], -v[17:18]
	v_add_f64 v[9:10], v[75:76], v[9:10]
	v_fma_f64 v[91:92], v[95:96], s[0:1], v[29:30]
	v_fma_f64 v[87:88], v[89:90], s[8:9], v[27:28]
	;; [unrolled: 1-line block ×4, first 2 shown]
	v_add_f64 v[63:64], v[63:64], v[73:74]
	v_add_f64 v[19:20], v[19:20], v[21:22]
	;; [unrolled: 1-line block ×3, first 2 shown]
	v_fma_f64 v[75:76], v[5:6], s[0:1], v[35:36]
	v_fma_f64 v[35:36], v[5:6], s[8:9], v[35:36]
	;; [unrolled: 1-line block ×4, first 2 shown]
	v_add_f64 v[41:42], v[41:42], v[65:66]
	v_fma_f64 v[21:22], v[97:98], s[8:9], v[31:32]
	v_fma_f64 v[31:32], v[97:98], s[0:1], v[31:32]
	;; [unrolled: 1-line block ×10, first 2 shown]
	v_add_f64 v[89:90], v[17:18], -v[25:26]
	v_add_f64 v[9:10], v[9:10], v[17:18]
	v_add_f64 v[11:12], v[19:20], v[11:12]
	v_fma_f64 v[73:74], v[79:80], s[6:7], v[73:74]
	v_fma_f64 v[79:80], v[79:80], s[4:5], v[83:84]
	v_add_f64 v[2:3], v[2:3], v[13:14]
	v_add_f64 v[39:40], v[41:42], v[39:40]
	v_fma_f64 v[13:14], v[61:62], s[6:7], v[21:22]
	v_fma_f64 v[17:18], v[61:62], s[4:5], v[31:32]
	;; [unrolled: 1-line block ×15, first 2 shown]
	v_add_f64 v[63:64], v[93:94], v[89:90]
	v_add_f64 v[25:26], v[9:10], v[25:26]
	;; [unrolled: 1-line block ×4, first 2 shown]
	v_fma_f64 v[13:14], v[43:44], s[14:15], v[13:14]
	v_fma_f64 v[43:44], v[43:44], s[14:15], v[17:18]
	;; [unrolled: 1-line block ×4, first 2 shown]
	v_mul_f64 v[53:54], v[91:92], s[6:7]
	v_mul_f64 v[61:62], v[91:92], s[16:17]
	;; [unrolled: 1-line block ×3, first 2 shown]
	v_fma_f64 v[45:46], v[85:86], s[14:15], v[95:96]
	v_mul_f64 v[73:74], v[87:88], s[14:15]
	v_fma_f64 v[65:66], v[5:6], s[4:5], v[67:68]
	v_fma_f64 v[0:1], v[85:86], s[14:15], v[0:1]
	v_mul_f64 v[67:68], v[27:28], s[8:9]
	v_fma_f64 v[5:6], v[5:6], s[6:7], v[37:38]
	v_mul_f64 v[27:28], v[27:28], s[20:21]
	;; [unrolled: 2-line block ×3, first 2 shown]
	v_mul_f64 v[29:30], v[29:30], s[18:19]
	v_add_f64 v[7:8], v[25:26], v[2:3]
	v_add_f64 v[11:12], v[25:26], -v[2:3]
	v_fma_f64 v[31:32], v[35:36], s[16:17], v[53:54]
	v_fma_f64 v[35:36], v[35:36], s[4:5], v[61:62]
	;; [unrolled: 1-line block ×12, first 2 shown]
	v_add_f64 v[5:6], v[39:40], v[9:10]
	v_add_f64 v[9:10], v[39:40], -v[9:10]
	v_cmp_gt_u32_e64 s0, 10, v52
	v_add_f64 v[17:18], v[13:14], v[31:32]
	v_add_f64 v[19:20], v[23:24], v[35:36]
	v_add_f64 v[27:28], v[23:24], -v[35:36]
	v_add_f64 v[21:22], v[41:42], v[53:54]
	v_add_f64 v[25:26], v[13:14], -v[31:32]
	;; [unrolled: 2-line block ×5, first 2 shown]
	v_add_f64 v[37:38], v[43:44], v[69:70]
	v_add_f64 v[39:40], v[67:68], v[73:74]
	v_add_f64 v[0:1], v[43:44], -v[69:70]
	v_add_f64 v[43:44], v[63:64], -v[71:72]
	;; [unrolled: 1-line block ×3, first 2 shown]
	v_mad_u32_u24 v13, 0x640, v47, 0
	v_mul_i32_i24_e32 v59, 0xffffff70, v52
	v_add3_u32 v4, v13, v4, v56
	ds_write_b128 v4, v[5:8]
	ds_write_b128 v4, v[9:12] offset:800
	ds_write_b128 v4, v[17:20] offset:160
	;; [unrolled: 1-line block ×9, first 2 shown]
	s_waitcnt lgkmcnt(0)
	s_barrier
	buffer_gl0_inv
	ds_read_b128 v[20:23], v16
	ds_read_b128 v[12:15], v57 offset:480
	ds_read_b128 v[36:39], v57 offset:3200
	;; [unrolled: 1-line block ×8, first 2 shown]
                                        ; implicit-def: $vgpr10_vgpr11
                                        ; implicit-def: $vgpr6_vgpr7
	s_and_saveexec_b32 s1, s0
	s_cbranch_execz .LBB0_21
; %bb.20:
	ds_read_b128 v[0:3], v57 offset:1440
	ds_read_b128 v[4:7], v57 offset:3040
	;; [unrolled: 1-line block ×3, first 2 shown]
.LBB0_21:
	s_or_b32 exec_lo, exec_lo, s1
	v_lshlrev_b32_e32 v53, 1, v52
	v_mov_b32_e32 v54, 0
	s_mov_b32 s4, 0xe8584caa
	s_mov_b32 s5, 0xbfebb67a
	s_mov_b32 s7, 0x3febb67a
	v_add_nc_u32_e32 v62, 60, v53
	v_mov_b32_e32 v63, v54
	v_lshlrev_b64 v[60:61], 4, v[53:54]
	v_add_nc_u32_e32 v53, 0x78, v53
	s_mov_b32 s6, s4
	v_lshlrev_b64 v[62:63], 4, v[62:63]
	v_lshlrev_b64 v[68:69], 4, v[53:54]
	v_add_co_u32 v64, s1, s12, v60
	v_add_co_ci_u32_e64 v65, s1, s13, v61, s1
	v_add_co_u32 v72, s1, s12, v62
	v_add_co_ci_u32_e64 v73, s1, s13, v63, s1
	v_add_co_u32 v80, s1, s12, v68
	s_clause 0x1
	global_load_dwordx4 v[60:63], v[64:65], off offset:1440
	global_load_dwordx4 v[64:67], v[64:65], off offset:1456
	v_add_co_ci_u32_e64 v81, s1, s13, v69, s1
	s_clause 0x3
	global_load_dwordx4 v[68:71], v[72:73], off offset:1440
	global_load_dwordx4 v[72:75], v[72:73], off offset:1456
	;; [unrolled: 1-line block ×4, first 2 shown]
	v_add3_u32 v53, v58, v59, v56
	s_waitcnt vmcnt(0) lgkmcnt(0)
	s_barrier
	buffer_gl0_inv
	v_add_nc_u32_e32 v56, 0x800, v53
	v_add_nc_u32_e32 v53, 0x1000, v53
	v_mul_f64 v[84:85], v[46:47], v[62:63]
	v_mul_f64 v[86:87], v[38:39], v[66:67]
	;; [unrolled: 1-line block ×12, first 2 shown]
	v_fma_f64 v[44:45], v[44:45], v[60:61], v[84:85]
	v_fma_f64 v[36:37], v[36:37], v[64:65], v[86:87]
	v_fma_f64 v[46:47], v[46:47], v[60:61], -v[62:63]
	v_fma_f64 v[38:39], v[38:39], v[64:65], -v[66:67]
	v_fma_f64 v[40:41], v[40:41], v[68:69], v[88:89]
	v_fma_f64 v[24:25], v[24:25], v[72:73], v[90:91]
	v_fma_f64 v[42:43], v[42:43], v[68:69], -v[70:71]
	v_fma_f64 v[26:27], v[26:27], v[72:73], -v[74:75]
	;; [unrolled: 4-line block ×3, first 2 shown]
	v_add_f64 v[72:73], v[20:21], v[44:45]
	v_add_f64 v[60:61], v[44:45], v[36:37]
	v_add_f64 v[44:45], v[44:45], -v[36:37]
	v_add_f64 v[62:63], v[46:47], v[38:39]
	v_add_f64 v[74:75], v[46:47], -v[38:39]
	v_add_f64 v[64:65], v[40:41], v[24:25]
	v_add_f64 v[46:47], v[22:23], v[46:47]
	;; [unrolled: 1-line block ×8, first 2 shown]
	v_add_f64 v[42:43], v[42:43], -v[26:27]
	v_add_f64 v[40:41], v[40:41], -v[24:25]
	v_add_f64 v[82:83], v[18:19], v[30:31]
	v_add_f64 v[84:85], v[30:31], -v[34:35]
	v_add_f64 v[86:87], v[28:29], -v[32:33]
	v_fma_f64 v[60:61], v[60:61], -0.5, v[20:21]
	v_fma_f64 v[62:63], v[62:63], -0.5, v[22:23]
	;; [unrolled: 1-line block ×3, first 2 shown]
	v_add_f64 v[12:13], v[72:73], v[36:37]
	v_fma_f64 v[66:67], v[66:67], -0.5, v[14:15]
	v_add_f64 v[14:15], v[46:47], v[38:39]
	v_fma_f64 v[68:69], v[68:69], -0.5, v[16:17]
	;; [unrolled: 2-line block ×3, first 2 shown]
	v_add_f64 v[18:19], v[78:79], v[26:27]
	v_add_f64 v[20:21], v[80:81], v[32:33]
	;; [unrolled: 1-line block ×3, first 2 shown]
	v_fma_f64 v[24:25], v[74:75], s[4:5], v[60:61]
	v_fma_f64 v[28:29], v[74:75], s[6:7], v[60:61]
	v_fma_f64 v[26:27], v[44:45], s[6:7], v[62:63]
	v_fma_f64 v[30:31], v[44:45], s[4:5], v[62:63]
	v_fma_f64 v[32:33], v[42:43], s[4:5], v[64:65]
	v_fma_f64 v[34:35], v[42:43], s[6:7], v[64:65]
	v_fma_f64 v[36:37], v[40:41], s[6:7], v[66:67]
	v_fma_f64 v[38:39], v[40:41], s[4:5], v[66:67]
	v_fma_f64 v[40:41], v[84:85], s[4:5], v[68:69]
	v_fma_f64 v[42:43], v[84:85], s[6:7], v[68:69]
	v_fma_f64 v[44:45], v[86:87], s[6:7], v[70:71]
	v_fma_f64 v[46:47], v[86:87], s[4:5], v[70:71]
	ds_write_b128 v57, v[12:15]
	ds_write_b128 v57, v[16:19] offset:480
	ds_write_b128 v57, v[24:27] offset:1600
	;; [unrolled: 1-line block ×3, first 2 shown]
	ds_write2_b64 v56, v[32:33], v[36:37] offset0:4 offset1:5
	ds_write2_b64 v56, v[34:35], v[38:39] offset0:204 offset1:205
	ds_write_b128 v57, v[20:23] offset:960
	ds_write2_b64 v56, v[40:41], v[44:45] offset0:64 offset1:65
	ds_write2_b64 v53, v[42:43], v[46:47] offset0:8 offset1:9
	s_and_saveexec_b32 s1, s0
	s_cbranch_execz .LBB0_23
; %bb.22:
	v_cndmask_b32_e64 v12, -10, 0x5a, s0
	v_add_lshl_u32 v53, v52, v12, 1
	v_lshlrev_b64 v[12:13], 4, v[53:54]
	v_add_co_u32 v16, s0, s12, v12
	v_add_co_ci_u32_e64 v17, s0, s13, v13, s0
	s_clause 0x1
	global_load_dwordx4 v[12:15], v[16:17], off offset:1440
	global_load_dwordx4 v[16:19], v[16:17], off offset:1456
	s_waitcnt vmcnt(1)
	v_mul_f64 v[20:21], v[4:5], v[14:15]
	s_waitcnt vmcnt(0)
	v_mul_f64 v[22:23], v[8:9], v[18:19]
	v_mul_f64 v[14:15], v[6:7], v[14:15]
	;; [unrolled: 1-line block ×3, first 2 shown]
	v_fma_f64 v[6:7], v[6:7], v[12:13], -v[20:21]
	v_fma_f64 v[10:11], v[10:11], v[16:17], -v[22:23]
	v_fma_f64 v[4:5], v[4:5], v[12:13], v[14:15]
	v_fma_f64 v[8:9], v[8:9], v[16:17], v[18:19]
	v_add_f64 v[18:19], v[2:3], v[6:7]
	v_add_f64 v[12:13], v[6:7], v[10:11]
	v_add_f64 v[20:21], v[6:7], -v[10:11]
	v_add_f64 v[14:15], v[4:5], v[8:9]
	v_add_f64 v[16:17], v[4:5], -v[8:9]
	v_add_f64 v[4:5], v[0:1], v[4:5]
	v_fma_f64 v[12:13], v[12:13], -0.5, v[2:3]
	v_add_f64 v[2:3], v[18:19], v[10:11]
	v_fma_f64 v[14:15], v[14:15], -0.5, v[0:1]
	v_add_f64 v[0:1], v[4:5], v[8:9]
	v_fma_f64 v[10:11], v[16:17], s[6:7], v[12:13]
	v_fma_f64 v[6:7], v[16:17], s[4:5], v[12:13]
	;; [unrolled: 1-line block ×4, first 2 shown]
	ds_write_b128 v57, v[0:3] offset:1440
	ds_write_b128 v57, v[8:11] offset:3040
	;; [unrolled: 1-line block ×3, first 2 shown]
.LBB0_23:
	s_or_b32 exec_lo, exec_lo, s1
	s_waitcnt lgkmcnt(0)
	s_barrier
	buffer_gl0_inv
	s_and_saveexec_b32 s0, vcc_lo
	s_cbranch_execz .LBB0_25
; %bb.24:
	v_mul_lo_u32 v2, s3, v50
	v_mul_lo_u32 v3, s2, v51
	v_mad_u64_u32 v[0:1], null, s2, v50, 0
	v_mov_b32_e32 v53, 0
	v_lshl_add_u32 v30, v52, 4, v55
	v_lshlrev_b64 v[12:13], 4, v[48:49]
	v_add_nc_u32_e32 v14, 30, v52
	v_add_nc_u32_e32 v16, 60, v52
	v_mov_b32_e32 v15, v53
	v_add3_u32 v1, v1, v3, v2
	v_lshlrev_b64 v[18:19], 4, v[52:53]
	v_mov_b32_e32 v17, v53
	v_add_nc_u32_e32 v28, 0x78, v52
	v_mov_b32_e32 v29, v53
	v_lshlrev_b64 v[8:9], 4, v[0:1]
	ds_read_b128 v[0:3], v30
	ds_read_b128 v[4:7], v30 offset:480
	v_add_co_u32 v20, vcc_lo, s10, v8
	v_add_co_ci_u32_e32 v21, vcc_lo, s11, v9, vcc_lo
	ds_read_b128 v[8:11], v30 offset:960
	v_add_co_u32 v31, vcc_lo, v20, v12
	v_add_co_ci_u32_e32 v32, vcc_lo, v21, v13, vcc_lo
	v_lshlrev_b64 v[12:13], 4, v[14:15]
	v_add_co_u32 v20, vcc_lo, v31, v18
	v_lshlrev_b64 v[14:15], 4, v[16:17]
	v_add_nc_u32_e32 v16, 0x5a, v52
	v_add_co_ci_u32_e32 v21, vcc_lo, v32, v19, vcc_lo
	v_add_co_u32 v22, vcc_lo, v31, v12
	v_add_co_ci_u32_e32 v23, vcc_lo, v32, v13, vcc_lo
	v_lshlrev_b64 v[26:27], 4, v[16:17]
	ds_read_b128 v[16:19], v30 offset:1920
	v_add_co_u32 v24, vcc_lo, v31, v14
	v_add_co_ci_u32_e32 v25, vcc_lo, v32, v15, vcc_lo
	ds_read_b128 v[12:15], v30 offset:1440
	s_waitcnt lgkmcnt(4)
	global_store_dwordx4 v[20:21], v[0:3], off
	s_waitcnt lgkmcnt(3)
	global_store_dwordx4 v[22:23], v[4:7], off
	;; [unrolled: 2-line block ×3, first 2 shown]
	v_lshlrev_b64 v[0:1], 4, v[28:29]
	v_add_co_u32 v2, vcc_lo, v31, v26
	v_add_co_ci_u32_e32 v3, vcc_lo, v32, v27, vcc_lo
	v_add_nc_u32_e32 v4, 0x96, v52
	v_mov_b32_e32 v5, v53
	v_add_co_u32 v6, vcc_lo, v31, v0
	v_add_co_ci_u32_e32 v7, vcc_lo, v32, v1, vcc_lo
	v_add_nc_u32_e32 v8, 0xb4, v52
	v_mov_b32_e32 v9, v53
	v_lshlrev_b64 v[4:5], 4, v[4:5]
	s_waitcnt lgkmcnt(1)
	global_store_dwordx4 v[6:7], v[16:19], off
	v_add_nc_u32_e32 v24, 0xf0, v52
	v_mov_b32_e32 v25, v53
	v_lshlrev_b64 v[6:7], 4, v[8:9]
	s_waitcnt lgkmcnt(0)
	global_store_dwordx4 v[2:3], v[12:15], off
	v_add_co_u32 v20, vcc_lo, v31, v4
	v_add_nc_u32_e32 v12, 0xd2, v52
	v_mov_b32_e32 v13, v53
	v_add_co_ci_u32_e32 v21, vcc_lo, v32, v5, vcc_lo
	v_add_co_u32 v22, vcc_lo, v31, v6
	ds_read_b128 v[0:3], v30 offset:2400
	v_add_co_ci_u32_e32 v23, vcc_lo, v32, v7, vcc_lo
	ds_read_b128 v[4:7], v30 offset:2880
	ds_read_b128 v[8:11], v30 offset:3360
	v_lshlrev_b64 v[26:27], 4, v[12:13]
	ds_read_b128 v[12:15], v30 offset:3840
	ds_read_b128 v[16:19], v30 offset:4320
	v_add_nc_u32_e32 v52, 0x10e, v52
	v_lshlrev_b64 v[24:25], 4, v[24:25]
	v_add_co_u32 v26, vcc_lo, v31, v26
	v_lshlrev_b64 v[28:29], 4, v[52:53]
	v_add_co_ci_u32_e32 v27, vcc_lo, v32, v27, vcc_lo
	v_add_co_u32 v24, vcc_lo, v31, v24
	v_add_co_ci_u32_e32 v25, vcc_lo, v32, v25, vcc_lo
	v_add_co_u32 v28, vcc_lo, v31, v28
	v_add_co_ci_u32_e32 v29, vcc_lo, v32, v29, vcc_lo
	s_waitcnt lgkmcnt(4)
	global_store_dwordx4 v[20:21], v[0:3], off
	s_waitcnt lgkmcnt(3)
	global_store_dwordx4 v[22:23], v[4:7], off
	;; [unrolled: 2-line block ×5, first 2 shown]
.LBB0_25:
	s_endpgm
	.section	.rodata,"a",@progbits
	.p2align	6, 0x0
	.amdhsa_kernel fft_rtc_back_len300_factors_10_10_3_wgs_60_tpt_30_halfLds_dp_op_CI_CI_unitstride_sbrr_C2R_dirReg
		.amdhsa_group_segment_fixed_size 0
		.amdhsa_private_segment_fixed_size 0
		.amdhsa_kernarg_size 104
		.amdhsa_user_sgpr_count 6
		.amdhsa_user_sgpr_private_segment_buffer 1
		.amdhsa_user_sgpr_dispatch_ptr 0
		.amdhsa_user_sgpr_queue_ptr 0
		.amdhsa_user_sgpr_kernarg_segment_ptr 1
		.amdhsa_user_sgpr_dispatch_id 0
		.amdhsa_user_sgpr_flat_scratch_init 0
		.amdhsa_user_sgpr_private_segment_size 0
		.amdhsa_wavefront_size32 1
		.amdhsa_uses_dynamic_stack 0
		.amdhsa_system_sgpr_private_segment_wavefront_offset 0
		.amdhsa_system_sgpr_workgroup_id_x 1
		.amdhsa_system_sgpr_workgroup_id_y 0
		.amdhsa_system_sgpr_workgroup_id_z 0
		.amdhsa_system_sgpr_workgroup_info 0
		.amdhsa_system_vgpr_workitem_id 0
		.amdhsa_next_free_vgpr 99
		.amdhsa_next_free_sgpr 27
		.amdhsa_reserve_vcc 1
		.amdhsa_reserve_flat_scratch 0
		.amdhsa_float_round_mode_32 0
		.amdhsa_float_round_mode_16_64 0
		.amdhsa_float_denorm_mode_32 3
		.amdhsa_float_denorm_mode_16_64 3
		.amdhsa_dx10_clamp 1
		.amdhsa_ieee_mode 1
		.amdhsa_fp16_overflow 0
		.amdhsa_workgroup_processor_mode 1
		.amdhsa_memory_ordered 1
		.amdhsa_forward_progress 0
		.amdhsa_shared_vgpr_count 0
		.amdhsa_exception_fp_ieee_invalid_op 0
		.amdhsa_exception_fp_denorm_src 0
		.amdhsa_exception_fp_ieee_div_zero 0
		.amdhsa_exception_fp_ieee_overflow 0
		.amdhsa_exception_fp_ieee_underflow 0
		.amdhsa_exception_fp_ieee_inexact 0
		.amdhsa_exception_int_div_zero 0
	.end_amdhsa_kernel
	.text
.Lfunc_end0:
	.size	fft_rtc_back_len300_factors_10_10_3_wgs_60_tpt_30_halfLds_dp_op_CI_CI_unitstride_sbrr_C2R_dirReg, .Lfunc_end0-fft_rtc_back_len300_factors_10_10_3_wgs_60_tpt_30_halfLds_dp_op_CI_CI_unitstride_sbrr_C2R_dirReg
                                        ; -- End function
	.section	.AMDGPU.csdata,"",@progbits
; Kernel info:
; codeLenInByte = 7860
; NumSgprs: 29
; NumVgprs: 99
; ScratchSize: 0
; MemoryBound: 0
; FloatMode: 240
; IeeeMode: 1
; LDSByteSize: 0 bytes/workgroup (compile time only)
; SGPRBlocks: 3
; VGPRBlocks: 12
; NumSGPRsForWavesPerEU: 29
; NumVGPRsForWavesPerEU: 99
; Occupancy: 9
; WaveLimiterHint : 1
; COMPUTE_PGM_RSRC2:SCRATCH_EN: 0
; COMPUTE_PGM_RSRC2:USER_SGPR: 6
; COMPUTE_PGM_RSRC2:TRAP_HANDLER: 0
; COMPUTE_PGM_RSRC2:TGID_X_EN: 1
; COMPUTE_PGM_RSRC2:TGID_Y_EN: 0
; COMPUTE_PGM_RSRC2:TGID_Z_EN: 0
; COMPUTE_PGM_RSRC2:TIDIG_COMP_CNT: 0
	.text
	.p2alignl 6, 3214868480
	.fill 48, 4, 3214868480
	.type	__hip_cuid_a66fd2e4e703e6b0,@object ; @__hip_cuid_a66fd2e4e703e6b0
	.section	.bss,"aw",@nobits
	.globl	__hip_cuid_a66fd2e4e703e6b0
__hip_cuid_a66fd2e4e703e6b0:
	.byte	0                               ; 0x0
	.size	__hip_cuid_a66fd2e4e703e6b0, 1

	.ident	"AMD clang version 19.0.0git (https://github.com/RadeonOpenCompute/llvm-project roc-6.4.0 25133 c7fe45cf4b819c5991fe208aaa96edf142730f1d)"
	.section	".note.GNU-stack","",@progbits
	.addrsig
	.addrsig_sym __hip_cuid_a66fd2e4e703e6b0
	.amdgpu_metadata
---
amdhsa.kernels:
  - .args:
      - .actual_access:  read_only
        .address_space:  global
        .offset:         0
        .size:           8
        .value_kind:     global_buffer
      - .offset:         8
        .size:           8
        .value_kind:     by_value
      - .actual_access:  read_only
        .address_space:  global
        .offset:         16
        .size:           8
        .value_kind:     global_buffer
      - .actual_access:  read_only
        .address_space:  global
        .offset:         24
        .size:           8
        .value_kind:     global_buffer
      - .actual_access:  read_only
        .address_space:  global
        .offset:         32
        .size:           8
        .value_kind:     global_buffer
      - .offset:         40
        .size:           8
        .value_kind:     by_value
      - .actual_access:  read_only
        .address_space:  global
        .offset:         48
        .size:           8
        .value_kind:     global_buffer
      - .actual_access:  read_only
        .address_space:  global
        .offset:         56
        .size:           8
        .value_kind:     global_buffer
      - .offset:         64
        .size:           4
        .value_kind:     by_value
      - .actual_access:  read_only
        .address_space:  global
        .offset:         72
        .size:           8
        .value_kind:     global_buffer
      - .actual_access:  read_only
        .address_space:  global
        .offset:         80
        .size:           8
        .value_kind:     global_buffer
      - .actual_access:  read_only
        .address_space:  global
        .offset:         88
        .size:           8
        .value_kind:     global_buffer
      - .actual_access:  write_only
        .address_space:  global
        .offset:         96
        .size:           8
        .value_kind:     global_buffer
    .group_segment_fixed_size: 0
    .kernarg_segment_align: 8
    .kernarg_segment_size: 104
    .language:       OpenCL C
    .language_version:
      - 2
      - 0
    .max_flat_workgroup_size: 60
    .name:           fft_rtc_back_len300_factors_10_10_3_wgs_60_tpt_30_halfLds_dp_op_CI_CI_unitstride_sbrr_C2R_dirReg
    .private_segment_fixed_size: 0
    .sgpr_count:     29
    .sgpr_spill_count: 0
    .symbol:         fft_rtc_back_len300_factors_10_10_3_wgs_60_tpt_30_halfLds_dp_op_CI_CI_unitstride_sbrr_C2R_dirReg.kd
    .uniform_work_group_size: 1
    .uses_dynamic_stack: false
    .vgpr_count:     99
    .vgpr_spill_count: 0
    .wavefront_size: 32
    .workgroup_processor_mode: 1
amdhsa.target:   amdgcn-amd-amdhsa--gfx1030
amdhsa.version:
  - 1
  - 2
...

	.end_amdgpu_metadata
